;; amdgpu-corpus repo=ROCm/bitsandbytes kind=harvested arch=n/a opt=n/a
	.text
	.amdgcn_target "amdgcn-amd-amdhsa--gfx1100"
	.amdhsa_code_object_version 6
	.protected	_Z20kDequantizeBlockwiseIfLi512ELi64ELi8ELi1EEvPfPhS0_PT_ii ; -- Begin function _Z20kDequantizeBlockwiseIfLi512ELi64ELi8ELi1EEvPfPhS0_PT_ii
	.globl	_Z20kDequantizeBlockwiseIfLi512ELi64ELi8ELi1EEvPfPhS0_PT_ii
	.p2align	8
	.type	_Z20kDequantizeBlockwiseIfLi512ELi64ELi8ELi1EEvPfPhS0_PT_ii,@function
_Z20kDequantizeBlockwiseIfLi512ELi64ELi8ELi1EEvPfPhS0_PT_ii: ; @_Z20kDequantizeBlockwiseIfLi512ELi64ELi8ELi1EEvPfPhS0_PT_ii
; %bb.0:
	s_load_b32 s11, s[0:1], 0x28
	s_lshl_b32 s9, s15, 9
	s_waitcnt lgkmcnt(0)
	s_lshl_b32 s8, s11, 9
	s_delay_alu instid0(SALU_CYCLE_1)
	s_cmp_ge_i32 s9, s8
	s_cbranch_scc1 .LBB156_51
; %bb.1:
	s_load_b256 s[0:7], s[0:1], 0x8
	v_lshlrev_b32_e32 v4, 3, v0
	v_mbcnt_lo_u32_b32 v1, -1, 0
	s_lshl_b32 s11, s11, 10
	s_delay_alu instid0(VALU_DEP_2) | instskip(NEXT) | instid1(VALU_DEP_1)
	v_and_b32_e32 v2, 0x1f00, v4
	v_or_b32_e32 v5, v1, v2
	v_lshrrev_b32_e32 v3, 5, v2
	s_delay_alu instid0(VALU_DEP_2)
	v_or_b32_e32 v9, 0x80, v5
	v_or_b32_e32 v10, 0xa0, v5
	;; [unrolled: 1-line block ×4, first 2 shown]
	s_waitcnt lgkmcnt(0)
	v_add_co_u32 v12, s0, s0, v1
	v_or_b32_e32 v8, 0x60, v5
	v_or_b32_e32 v11, 0xc0, v5
	;; [unrolled: 1-line block ×3, first 2 shown]
	s_delay_alu instid0(VALU_DEP_4)
	v_add_co_u32 v12, vcc_lo, v12, v2
	v_lshrrev_b32_e32 v2, 5, v9
	v_lshrrev_b32_e32 v20, 5, v10
	v_add_nc_u32_e32 v15, v3, v5
	v_add_nc_u32_e32 v16, v3, v6
	;; [unrolled: 1-line block ×4, first 2 shown]
	v_and_or_b32 v2, 0x3e0, v0, v1
	v_lshlrev_b32_e32 v0, 4, v0
	v_add_nc_u32_e32 v18, v3, v8
	v_and_b32_e32 v3, 0xfc, v20
	v_lshrrev_b32_e32 v21, 5, v11
	v_lshrrev_b32_e32 v22, 5, v14
	;; [unrolled: 1-line block ×3, first 2 shown]
	v_and_b32_e32 v0, 0x3e00, v0
	v_add_nc_u32_e32 v20, v3, v10
	v_and_b32_e32 v3, 0xfc, v21
	v_and_b32_e32 v24, 0xfc, v22
	;; [unrolled: 1-line block ×3, first 2 shown]
	v_or_b32_e32 v21, v1, v0
	v_lshlrev_b32_e32 v26, 4, v2
	v_bfe_u32 v27, v2, 1, 27
	v_add_nc_u32_e32 v23, v24, v14
	v_lshl_add_u32 v24, v2, 3, v25
	v_or_b32_e32 v25, 32, v21
	v_add_nc_u32_e32 v22, v3, v11
	v_add_lshl_u32 v26, v27, v26, 2
	v_lshrrev_b32_e32 v2, 5, v0
	v_or_b32_e32 v27, 64, v21
	v_lshrrev_b32_e32 v3, 5, v25
	v_or_b32_e32 v29, 0x80, v21
	v_or_b32_e32 v32, 0xa0, v21
	v_add_lshl_u32 v30, v2, v21, 2
	v_lshrrev_b32_e32 v2, 5, v27
	v_add_lshl_u32 v31, v3, v25, 2
	v_lshrrev_b32_e32 v3, 5, v29
	v_or_b32_e32 v35, 0xc0, v21
	v_or_b32_e32 v37, 0xe0, v21
	v_add_lshl_u32 v33, v2, v27, 2
	v_lshrrev_b32_e32 v2, 5, v32
	v_add_lshl_u32 v36, v3, v29, 2
	;; [unrolled: 6-line block ×4, first 2 shown]
	v_lshrrev_b32_e32 v3, 5, v45
	v_or_b32_e32 v49, 0x1c0, v21
	v_lshlrev_b32_e32 v1, 2, v1
	s_add_i32 s10, s7, 1
	v_or_b32_e32 v28, 0x60, v21
	v_or_b32_e32 v38, 0x100, v21
	;; [unrolled: 1-line block ×3, first 2 shown]
	v_add_lshl_u32 v50, v2, v42, 2
	v_lshrrev_b32_e32 v2, 5, v47
	v_add_lshl_u32 v51, v3, v45, 2
	v_lshrrev_b32_e32 v3, 5, v49
	v_or_b32_e32 v52, 0x1e0, v21
	v_add_co_ci_u32_e64 v13, null, s1, 0, s0
	s_lshr_b32 s0, s10, 31
	v_lshlrev_b32_e32 v0, 2, v0
	s_add_i32 s10, s10, s0
	v_add_co_u32 v1, s0, s4, v1
	v_lshrrev_b32_e32 v34, 5, v28
	v_lshrrev_b32_e32 v44, 5, v38
	;; [unrolled: 1-line block ×3, first 2 shown]
	v_add_lshl_u32 v53, v2, v47, 2
	v_add_lshl_u32 v55, v3, v49, 2
	v_lshrrev_b32_e32 v2, 5, v52
	v_add_co_ci_u32_e64 v3, null, s5, 0, s0
	s_clz_i32_u32 s6, s6
	v_add_co_ci_u32_e32 v13, vcc_lo, 0, v13, vcc_lo
	v_add_co_u32 v57, vcc_lo, v1, v0
	v_mov_b32_e32 v1, 0
	s_min_u32 s1, s6, 32
	v_add_lshl_u32 v34, v34, v28, 2
	v_add_lshl_u32 v44, v44, v38, 2
	;; [unrolled: 1-line block ×4, first 2 shown]
	v_add_co_ci_u32_e32 v58, vcc_lo, 0, v3, vcc_lo
	s_sub_i32 s6, 31, s1
	s_ashr_i32 s1, s10, 1
	s_lshl_b32 s0, s15, 10
	s_sub_i32 s10, s1, s9
	s_sub_i32 s7, s7, s0
	s_branch .LBB156_3
.LBB156_2:                              ;   in Loop: Header=BB156_3 Depth=1
	s_or_b32 exec_lo, exec_lo, s1
	s_add_i32 s9, s9, s8
	s_sub_i32 s10, s10, s8
	s_sub_i32 s7, s7, s11
	s_add_i32 s0, s0, s11
	s_cmp_ge_i32 s9, s8
	s_cbranch_scc1 .LBB156_51
.LBB156_3:                              ; =>This Inner Loop Header: Depth=1
	s_waitcnt lgkmcnt(0)
	v_dual_mov_b32 v59, 0x80 :: v_dual_add_nc_u32 v0, s9, v4
	s_ashr_i32 s4, s9, 31
	v_dual_mov_b32 v60, 0x80 :: v_dual_mov_b32 v61, 0x80
	s_delay_alu instid0(VALU_DEP_2) | instskip(SKIP_2) | instid1(VALU_DEP_3)
	v_lshrrev_b32_e32 v0, s6, v0
	v_dual_mov_b32 v62, 0x80 :: v_dual_mov_b32 v63, 0x80
	v_dual_mov_b32 v64, 0x80 :: v_dual_mov_b32 v65, 0x80
	v_lshlrev_b64 v[2:3], 2, v[0:1]
	s_min_i32 s1, s10, 0x200
	s_delay_alu instid0(VALU_DEP_1) | instskip(NEXT) | instid1(VALU_DEP_2)
	v_add_co_u32 v2, vcc_lo, s2, v2
	v_add_co_ci_u32_e32 v3, vcc_lo, s3, v3, vcc_lo
	global_load_b32 v0, v[2:3], off
	v_add_co_u32 v2, vcc_lo, v12, s9
	v_add_co_ci_u32_e32 v3, vcc_lo, s4, v13, vcc_lo
	s_mov_b32 s4, exec_lo
	s_waitcnt vmcnt(0)
	s_waitcnt_vscnt null, 0x0
	s_barrier
	buffer_gl0_inv
	v_cmpx_gt_u32_e64 s1, v5
	s_cbranch_execz .LBB156_5
; %bb.4:                                ;   in Loop: Header=BB156_3 Depth=1
	global_load_u8 v60, v[2:3], off
	v_dual_mov_b32 v59, 0x80 :: v_dual_mov_b32 v62, 0x80
	v_dual_mov_b32 v61, 0x80 :: v_dual_mov_b32 v64, 0x80
	v_mov_b32_e32 v63, 0x80
	v_mov_b32_e32 v65, 0x80
.LBB156_5:                              ;   in Loop: Header=BB156_3 Depth=1
	s_or_b32 exec_lo, exec_lo, s4
	v_mov_b32_e32 v66, v59
	s_mov_b32 s4, exec_lo
	v_cmpx_gt_u32_e64 s1, v6
	s_cbranch_execnz .LBB156_29
; %bb.6:                                ;   in Loop: Header=BB156_3 Depth=1
	s_or_b32 exec_lo, exec_lo, s4
	s_delay_alu instid0(SALU_CYCLE_1)
	s_mov_b32 s4, exec_lo
	v_cmpx_gt_u32_e64 s1, v7
	s_cbranch_execnz .LBB156_30
.LBB156_7:                              ;   in Loop: Header=BB156_3 Depth=1
	s_or_b32 exec_lo, exec_lo, s4
	s_delay_alu instid0(SALU_CYCLE_1)
	s_mov_b32 s4, exec_lo
	v_cmpx_gt_u32_e64 s1, v8
	s_cbranch_execnz .LBB156_31
.LBB156_8:                              ;   in Loop: Header=BB156_3 Depth=1
	s_or_b32 exec_lo, exec_lo, s4
	s_delay_alu instid0(SALU_CYCLE_1)
	s_mov_b32 s4, exec_lo
	v_cmpx_gt_u32_e64 s1, v9
	s_cbranch_execnz .LBB156_32
.LBB156_9:                              ;   in Loop: Header=BB156_3 Depth=1
	s_or_b32 exec_lo, exec_lo, s4
	s_delay_alu instid0(SALU_CYCLE_1)
	s_mov_b32 s4, exec_lo
	v_cmpx_gt_u32_e64 s1, v10
	s_cbranch_execnz .LBB156_33
.LBB156_10:                             ;   in Loop: Header=BB156_3 Depth=1
	s_or_b32 exec_lo, exec_lo, s4
	s_delay_alu instid0(SALU_CYCLE_1)
	s_mov_b32 s4, exec_lo
	v_cmpx_gt_u32_e64 s1, v11
	s_cbranch_execnz .LBB156_34
.LBB156_11:                             ;   in Loop: Header=BB156_3 Depth=1
	s_or_b32 exec_lo, exec_lo, s4
	v_cmp_gt_u32_e32 vcc_lo, s1, v14
	s_and_saveexec_b32 s1, vcc_lo
	s_cbranch_execz .LBB156_13
.LBB156_12:                             ;   in Loop: Header=BB156_3 Depth=1
	global_load_u8 v65, v[2:3], off offset:224
.LBB156_13:                             ;   in Loop: Header=BB156_3 Depth=1
	s_or_b32 exec_lo, exec_lo, s1
	s_waitcnt vmcnt(0)
	ds_store_b8 v15, v60 offset:4224
	ds_store_b8 v16, v66 offset:4224
	ds_store_b8 v17, v59 offset:4224
	ds_store_b8 v18, v61 offset:4224
	ds_store_b8 v19, v62 offset:4224
	ds_store_b8 v20, v63 offset:4224
	ds_store_b8 v22, v64 offset:4224
	ds_store_b8 v23, v65 offset:4224
	; wave barrier
	ds_load_b64 v[2:3], v24 offset:4224
	s_getpc_b64 s[4:5]
	s_add_u32 s4, s4, _ZL22fp4_dequantization_lut@rel32@lo+4
	s_addc_u32 s5, s5, _ZL22fp4_dequantization_lut@rel32@hi+12
	s_ashr_i32 s1, s0, 31
	s_delay_alu instid0(SALU_CYCLE_1)
	s_lshl_b64 s[12:13], s[0:1], 2
	s_mov_b32 s1, exec_lo
	s_waitcnt lgkmcnt(0)
	v_lshrrev_b32_e32 v79, 18, v3
	v_lshrrev_b32_e32 v88, 2, v3
	v_lshrrev_b32_e32 v62, 10, v2
	v_lshrrev_b32_e32 v66, 18, v2
	v_lshrrev_b16 v59, 4, v2
	v_and_b32_e32 v83, 28, v79
	v_and_b32_e32 v79, 2, v79
	;; [unrolled: 1-line block ×3, first 2 shown]
	v_lshrrev_b32_e32 v69, 10, v3
	v_lshrrev_b32_e32 v61, 14, v2
	v_lshrrev_b16 v64, 4, v3
	v_cvt_f32_ubyte0_e32 v79, v79
	v_and_b32_e32 v72, 28, v66
	v_cvt_f32_ubyte0_e32 v88, v88
	v_and_b32_e32 v71, 28, v62
	s_delay_alu instid0(VALU_DEP_4) | instskip(SKIP_3) | instid1(VALU_DEP_4)
	v_dual_sub_f32 v79, 1.0, v79 :: v_dual_and_b32 v66, 2, v66
	v_and_b32_e32 v62, 2, v62
	v_and_b32_e32 v80, 28, v69
	;; [unrolled: 1-line block ×3, first 2 shown]
	v_cvt_f32_ubyte0_e32 v66, v66
	v_lshrrev_b32_e32 v77, 14, v3
	v_cvt_f32_ubyte0_e32 v62, v62
	v_and_b32_e32 v59, 15, v59
	v_cvt_f32_ubyte0_e32 v69, v69
	v_sub_f32_e32 v66, 1.0, v66
	v_lshrrev_b32_e32 v82, 22, v3
	s_delay_alu instid0(VALU_DEP_4) | instskip(SKIP_2) | instid1(VALU_DEP_4)
	v_dual_sub_f32 v62, 1.0, v62 :: v_dual_and_b32 v59, 0xffff, v59
	v_and_b32_e32 v84, 28, v77
	v_dual_sub_f32 v88, 1.0, v88 :: v_dual_and_b32 v77, 2, v77
	v_and_b32_e32 v86, 28, v82
	s_delay_alu instid0(VALU_DEP_4)
	v_dual_sub_f32 v69, 1.0, v69 :: v_dual_and_b32 v70, 7, v59
	v_lshrrev_b32_e32 v59, 2, v59
	v_and_b32_e32 v82, 2, v82
	v_cvt_f32_ubyte0_e32 v77, v77
	v_lshrrev_b32_e32 v65, 22, v2
	v_lshrrev_b32_e32 v67, 26, v2
	v_and_b32_e32 v59, 2, v59
	v_cvt_f32_ubyte0_e32 v82, v82
	v_lshrrev_b32_e32 v87, 2, v2
	v_lshrrev_b32_e32 v63, 6, v2
	v_lshrrev_b32_e32 v78, 6, v3
	v_cvt_f32_ubyte0_e32 v59, v59
	v_and_b32_e32 v74, 28, v61
	v_and_b32_e32 v61, 2, v61
	v_sub_f32_e32 v77, 1.0, v77
	v_lshrrev_b32_e32 v81, 26, v3
	v_dual_sub_f32 v59, 1.0, v59 :: v_dual_and_b32 v76, 28, v65
	s_delay_alu instid0(VALU_DEP_4) | instskip(SKIP_2) | instid1(VALU_DEP_2)
	v_cvt_f32_ubyte0_e32 v61, v61
	v_and_b32_e32 v64, 15, v64
	v_dual_sub_f32 v82, 1.0, v82 :: v_dual_and_b32 v65, 2, v65
	v_dual_sub_f32 v61, 1.0, v61 :: v_dual_and_b32 v64, 0xffff, v64
	s_delay_alu instid0(VALU_DEP_2) | instskip(SKIP_2) | instid1(VALU_DEP_4)
	v_cvt_f32_ubyte0_e32 v65, v65
	v_and_b32_e32 v68, 7, v3
	v_lshrrev_b32_e32 v3, 30, v3
	v_and_b32_e32 v73, 7, v64
	v_lshrrev_b32_e32 v64, 2, v64
	v_sub_f32_e32 v65, 1.0, v65
	s_delay_alu instid0(VALU_DEP_4) | instskip(NEXT) | instid1(VALU_DEP_3)
	v_and_b32_e32 v3, 2, v3
	v_and_b32_e32 v64, 2, v64
	s_delay_alu instid0(VALU_DEP_2) | instskip(SKIP_1) | instid1(VALU_DEP_3)
	v_cvt_f32_ubyte0_e32 v3, v3
	v_lshlrev_b32_e32 v70, 2, v70
	v_cvt_f32_ubyte0_e32 v64, v64
	v_and_b32_e32 v75, 28, v67
	v_and_b32_e32 v67, 2, v67
	s_delay_alu instid0(VALU_DEP_3) | instskip(SKIP_1) | instid1(VALU_DEP_3)
	v_dual_sub_f32 v3, 1.0, v3 :: v_dual_sub_f32 v64, 1.0, v64
	v_and_b32_e32 v87, 2, v87
	v_cvt_f32_ubyte0_e32 v67, v67
	s_delay_alu instid0(VALU_DEP_2) | instskip(SKIP_2) | instid1(VALU_DEP_4)
	v_cvt_f32_ubyte0_e32 v87, v87
	v_and_b32_e32 v60, 7, v2
	v_lshrrev_b32_e32 v2, 30, v2
	v_sub_f32_e32 v67, 1.0, v67
	s_delay_alu instid0(VALU_DEP_3) | instskip(NEXT) | instid1(VALU_DEP_3)
	v_dual_sub_f32 v87, 1.0, v87 :: v_dual_lshlrev_b32 v60, 2, v60
	v_and_b32_e32 v2, 2, v2
	s_delay_alu instid0(VALU_DEP_1) | instskip(NEXT) | instid1(VALU_DEP_1)
	v_cvt_f32_ubyte0_e32 v2, v2
	v_dual_sub_f32 v2, 1.0, v2 :: v_dual_and_b32 v63, 28, v63
	s_clause 0x7
	global_load_b32 v70, v70, s[4:5]
	global_load_b32 v60, v60, s[4:5]
	;; [unrolled: 1-line block ×8, first 2 shown]
	v_and_b32_e32 v78, 28, v78
	v_and_b32_e32 v85, 28, v81
	v_lshlrev_b32_e32 v73, 2, v73
	s_waitcnt vmcnt(7)
	v_mul_f32_e32 v59, v59, v70
	s_waitcnt vmcnt(5)
	v_dual_mul_f32 v60, v87, v60 :: v_dual_mul_f32 v61, v61, v71
	s_waitcnt vmcnt(3)
	v_dual_mul_f32 v62, v62, v63 :: v_dual_mul_f32 v63, v65, v72
	s_waitcnt vmcnt(2)
	v_mul_f32_e32 v65, v66, v74
	s_waitcnt vmcnt(1)
	v_mul_f32_e32 v2, v2, v75
	s_waitcnt vmcnt(0)
	v_dual_mul_f32 v66, v67, v76 :: v_dual_and_b32 v81, 2, v81
	v_mul_f32_e32 v59, v0, v59
	v_mul_f32_e32 v60, v0, v60
	;; [unrolled: 1-line block ×3, first 2 shown]
	s_delay_alu instid0(VALU_DEP_4)
	v_mul_f32_e32 v66, v0, v66
	v_cvt_f32_ubyte0_e32 v81, v81
	v_lshlrev_b32_e32 v68, 2, v68
	v_mul_f32_e32 v62, v0, v62
	v_mul_f32_e32 v63, v0, v63
	v_mul_f32_e32 v65, v0, v65
	v_sub_f32_e32 v81, 1.0, v81
	s_clause 0x7
	global_load_b32 v73, v73, s[4:5]
	global_load_b32 v68, v68, s[4:5]
	;; [unrolled: 1-line block ×8, first 2 shown]
	v_mul_f32_e32 v2, v0, v2
	s_waitcnt vmcnt(0)
	s_barrier
	buffer_gl0_inv
	s_min_i32 s4, s7, 0x400
	v_mul_f32_e32 v64, v64, v73
	v_mul_f32_e32 v67, v88, v68
	;; [unrolled: 1-line block ×3, first 2 shown]
	v_dual_mul_f32 v69, v69, v78 :: v_dual_mul_f32 v70, v82, v83
	v_mul_f32_e32 v71, v79, v84
	v_dual_mul_f32 v3, v3, v85 :: v_dual_mul_f32 v72, v81, v86
	v_mul_f32_e32 v64, v0, v64
	v_mul_f32_e32 v67, v0, v67
	;; [unrolled: 1-line block ×8, first 2 shown]
	ds_store_2addr_b32 v26, v59, v60 offset1:1
	ds_store_2addr_b32 v26, v61, v62 offset0:2 offset1:3
	ds_store_2addr_b32 v26, v63, v65 offset0:4 offset1:5
	;; [unrolled: 1-line block ×7, first 2 shown]
	; wave barrier
	ds_load_b32 v72, v31
	ds_load_b32 v71, v33
	;; [unrolled: 1-line block ×15, first 2 shown]
	v_add_co_u32 v2, vcc_lo, v57, s12
	v_add_co_ci_u32_e32 v3, vcc_lo, s13, v58, vcc_lo
	v_cmpx_gt_u32_e64 s4, v21
	s_cbranch_execnz .LBB156_35
; %bb.14:                               ;   in Loop: Header=BB156_3 Depth=1
	s_or_b32 exec_lo, exec_lo, s1
	s_delay_alu instid0(SALU_CYCLE_1)
	s_mov_b32 s1, exec_lo
	v_cmpx_gt_u32_e64 s4, v25
	s_cbranch_execnz .LBB156_36
.LBB156_15:                             ;   in Loop: Header=BB156_3 Depth=1
	s_or_b32 exec_lo, exec_lo, s1
	s_delay_alu instid0(SALU_CYCLE_1)
	s_mov_b32 s1, exec_lo
	v_cmpx_gt_u32_e64 s4, v27
	s_cbranch_execnz .LBB156_37
.LBB156_16:                             ;   in Loop: Header=BB156_3 Depth=1
	s_or_b32 exec_lo, exec_lo, s1
	s_delay_alu instid0(SALU_CYCLE_1)
	s_mov_b32 s1, exec_lo
	v_cmpx_gt_u32_e64 s4, v28
	s_cbranch_execnz .LBB156_38
.LBB156_17:                             ;   in Loop: Header=BB156_3 Depth=1
	s_or_b32 exec_lo, exec_lo, s1
	s_delay_alu instid0(SALU_CYCLE_1)
	s_mov_b32 s1, exec_lo
	v_cmpx_gt_u32_e64 s4, v29
	s_cbranch_execnz .LBB156_39
.LBB156_18:                             ;   in Loop: Header=BB156_3 Depth=1
	s_or_b32 exec_lo, exec_lo, s1
	s_delay_alu instid0(SALU_CYCLE_1)
	s_mov_b32 s1, exec_lo
	v_cmpx_gt_u32_e64 s4, v32
	s_cbranch_execnz .LBB156_40
.LBB156_19:                             ;   in Loop: Header=BB156_3 Depth=1
	s_or_b32 exec_lo, exec_lo, s1
	s_delay_alu instid0(SALU_CYCLE_1)
	s_mov_b32 s1, exec_lo
	v_cmpx_gt_u32_e64 s4, v35
	s_cbranch_execnz .LBB156_41
.LBB156_20:                             ;   in Loop: Header=BB156_3 Depth=1
	s_or_b32 exec_lo, exec_lo, s1
	s_delay_alu instid0(SALU_CYCLE_1)
	s_mov_b32 s1, exec_lo
	v_cmpx_gt_u32_e64 s4, v37
	s_cbranch_execnz .LBB156_42
.LBB156_21:                             ;   in Loop: Header=BB156_3 Depth=1
	s_or_b32 exec_lo, exec_lo, s1
	s_delay_alu instid0(SALU_CYCLE_1)
	s_mov_b32 s1, exec_lo
	v_cmpx_gt_u32_e64 s4, v38
	s_cbranch_execnz .LBB156_43
.LBB156_22:                             ;   in Loop: Header=BB156_3 Depth=1
	s_or_b32 exec_lo, exec_lo, s1
	s_delay_alu instid0(SALU_CYCLE_1)
	s_mov_b32 s1, exec_lo
	v_cmpx_gt_u32_e64 s4, v39
	s_cbranch_execnz .LBB156_44
.LBB156_23:                             ;   in Loop: Header=BB156_3 Depth=1
	s_or_b32 exec_lo, exec_lo, s1
	s_delay_alu instid0(SALU_CYCLE_1)
	s_mov_b32 s1, exec_lo
	v_cmpx_gt_u32_e64 s4, v42
	s_cbranch_execnz .LBB156_45
.LBB156_24:                             ;   in Loop: Header=BB156_3 Depth=1
	s_or_b32 exec_lo, exec_lo, s1
	s_delay_alu instid0(SALU_CYCLE_1)
	s_mov_b32 s1, exec_lo
	v_cmpx_gt_u32_e64 s4, v45
	s_cbranch_execnz .LBB156_46
.LBB156_25:                             ;   in Loop: Header=BB156_3 Depth=1
	s_or_b32 exec_lo, exec_lo, s1
	s_delay_alu instid0(SALU_CYCLE_1)
	s_mov_b32 s1, exec_lo
	v_cmpx_gt_u32_e64 s4, v47
	s_cbranch_execnz .LBB156_47
.LBB156_26:                             ;   in Loop: Header=BB156_3 Depth=1
	s_or_b32 exec_lo, exec_lo, s1
	s_delay_alu instid0(SALU_CYCLE_1)
	s_mov_b32 s1, exec_lo
	v_cmpx_gt_u32_e64 s4, v48
	s_cbranch_execnz .LBB156_48
.LBB156_27:                             ;   in Loop: Header=BB156_3 Depth=1
	s_or_b32 exec_lo, exec_lo, s1
	s_delay_alu instid0(SALU_CYCLE_1)
	s_mov_b32 s1, exec_lo
	v_cmpx_gt_u32_e64 s4, v49
	s_cbranch_execnz .LBB156_49
.LBB156_28:                             ;   in Loop: Header=BB156_3 Depth=1
	s_or_b32 exec_lo, exec_lo, s1
	s_delay_alu instid0(SALU_CYCLE_1)
	s_mov_b32 s1, exec_lo
	v_cmpx_gt_u32_e64 s4, v52
	s_cbranch_execz .LBB156_2
	s_branch .LBB156_50
.LBB156_29:                             ;   in Loop: Header=BB156_3 Depth=1
	global_load_u8 v66, v[2:3], off offset:32
	s_or_b32 exec_lo, exec_lo, s4
	s_delay_alu instid0(SALU_CYCLE_1)
	s_mov_b32 s4, exec_lo
	v_cmpx_gt_u32_e64 s1, v7
	s_cbranch_execz .LBB156_7
.LBB156_30:                             ;   in Loop: Header=BB156_3 Depth=1
	global_load_u8 v59, v[2:3], off offset:64
	s_or_b32 exec_lo, exec_lo, s4
	s_delay_alu instid0(SALU_CYCLE_1)
	s_mov_b32 s4, exec_lo
	v_cmpx_gt_u32_e64 s1, v8
	s_cbranch_execz .LBB156_8
.LBB156_31:                             ;   in Loop: Header=BB156_3 Depth=1
	global_load_u8 v61, v[2:3], off offset:96
	s_or_b32 exec_lo, exec_lo, s4
	s_delay_alu instid0(SALU_CYCLE_1)
	s_mov_b32 s4, exec_lo
	v_cmpx_gt_u32_e64 s1, v9
	s_cbranch_execz .LBB156_9
.LBB156_32:                             ;   in Loop: Header=BB156_3 Depth=1
	global_load_u8 v62, v[2:3], off offset:128
	s_or_b32 exec_lo, exec_lo, s4
	s_delay_alu instid0(SALU_CYCLE_1)
	s_mov_b32 s4, exec_lo
	v_cmpx_gt_u32_e64 s1, v10
	s_cbranch_execz .LBB156_10
.LBB156_33:                             ;   in Loop: Header=BB156_3 Depth=1
	global_load_u8 v63, v[2:3], off offset:160
	s_or_b32 exec_lo, exec_lo, s4
	s_delay_alu instid0(SALU_CYCLE_1)
	s_mov_b32 s4, exec_lo
	v_cmpx_gt_u32_e64 s1, v11
	s_cbranch_execz .LBB156_11
.LBB156_34:                             ;   in Loop: Header=BB156_3 Depth=1
	global_load_u8 v64, v[2:3], off offset:192
	s_or_b32 exec_lo, exec_lo, s4
	v_cmp_gt_u32_e32 vcc_lo, s1, v14
	s_and_saveexec_b32 s1, vcc_lo
	s_cbranch_execnz .LBB156_12
	s_branch .LBB156_13
.LBB156_35:                             ;   in Loop: Header=BB156_3 Depth=1
	ds_load_b32 v73, v30
	s_waitcnt lgkmcnt(0)
	global_store_b32 v[2:3], v73, off
	s_or_b32 exec_lo, exec_lo, s1
	s_delay_alu instid0(SALU_CYCLE_1)
	s_mov_b32 s1, exec_lo
	v_cmpx_gt_u32_e64 s4, v25
	s_cbranch_execz .LBB156_15
.LBB156_36:                             ;   in Loop: Header=BB156_3 Depth=1
	s_waitcnt lgkmcnt(14)
	global_store_b32 v[2:3], v72, off offset:128
	s_or_b32 exec_lo, exec_lo, s1
	s_delay_alu instid0(SALU_CYCLE_1)
	s_mov_b32 s1, exec_lo
	v_cmpx_gt_u32_e64 s4, v27
	s_cbranch_execz .LBB156_16
.LBB156_37:                             ;   in Loop: Header=BB156_3 Depth=1
	s_waitcnt lgkmcnt(13)
	global_store_b32 v[2:3], v71, off offset:256
	s_or_b32 exec_lo, exec_lo, s1
	s_delay_alu instid0(SALU_CYCLE_1)
	s_mov_b32 s1, exec_lo
	v_cmpx_gt_u32_e64 s4, v28
	s_cbranch_execz .LBB156_17
.LBB156_38:                             ;   in Loop: Header=BB156_3 Depth=1
	s_waitcnt lgkmcnt(12)
	global_store_b32 v[2:3], v70, off offset:384
	s_or_b32 exec_lo, exec_lo, s1
	s_delay_alu instid0(SALU_CYCLE_1)
	s_mov_b32 s1, exec_lo
	v_cmpx_gt_u32_e64 s4, v29
	s_cbranch_execz .LBB156_18
.LBB156_39:                             ;   in Loop: Header=BB156_3 Depth=1
	s_waitcnt lgkmcnt(11)
	global_store_b32 v[2:3], v69, off offset:512
	s_or_b32 exec_lo, exec_lo, s1
	s_delay_alu instid0(SALU_CYCLE_1)
	s_mov_b32 s1, exec_lo
	v_cmpx_gt_u32_e64 s4, v32
	s_cbranch_execz .LBB156_19
.LBB156_40:                             ;   in Loop: Header=BB156_3 Depth=1
	s_waitcnt lgkmcnt(10)
	global_store_b32 v[2:3], v68, off offset:640
	s_or_b32 exec_lo, exec_lo, s1
	s_delay_alu instid0(SALU_CYCLE_1)
	s_mov_b32 s1, exec_lo
	v_cmpx_gt_u32_e64 s4, v35
	s_cbranch_execz .LBB156_20
.LBB156_41:                             ;   in Loop: Header=BB156_3 Depth=1
	s_waitcnt lgkmcnt(9)
	global_store_b32 v[2:3], v67, off offset:768
	s_or_b32 exec_lo, exec_lo, s1
	s_delay_alu instid0(SALU_CYCLE_1)
	s_mov_b32 s1, exec_lo
	v_cmpx_gt_u32_e64 s4, v37
	s_cbranch_execz .LBB156_21
.LBB156_42:                             ;   in Loop: Header=BB156_3 Depth=1
	s_waitcnt lgkmcnt(8)
	global_store_b32 v[2:3], v66, off offset:896
	s_or_b32 exec_lo, exec_lo, s1
	s_delay_alu instid0(SALU_CYCLE_1)
	s_mov_b32 s1, exec_lo
	v_cmpx_gt_u32_e64 s4, v38
	s_cbranch_execz .LBB156_22
.LBB156_43:                             ;   in Loop: Header=BB156_3 Depth=1
	s_waitcnt lgkmcnt(7)
	global_store_b32 v[2:3], v65, off offset:1024
	s_or_b32 exec_lo, exec_lo, s1
	s_delay_alu instid0(SALU_CYCLE_1)
	s_mov_b32 s1, exec_lo
	v_cmpx_gt_u32_e64 s4, v39
	s_cbranch_execz .LBB156_23
.LBB156_44:                             ;   in Loop: Header=BB156_3 Depth=1
	s_waitcnt lgkmcnt(6)
	global_store_b32 v[2:3], v64, off offset:1152
	s_or_b32 exec_lo, exec_lo, s1
	s_delay_alu instid0(SALU_CYCLE_1)
	s_mov_b32 s1, exec_lo
	v_cmpx_gt_u32_e64 s4, v42
	s_cbranch_execz .LBB156_24
.LBB156_45:                             ;   in Loop: Header=BB156_3 Depth=1
	s_waitcnt lgkmcnt(5)
	global_store_b32 v[2:3], v63, off offset:1280
	s_or_b32 exec_lo, exec_lo, s1
	s_delay_alu instid0(SALU_CYCLE_1)
	s_mov_b32 s1, exec_lo
	v_cmpx_gt_u32_e64 s4, v45
	s_cbranch_execz .LBB156_25
.LBB156_46:                             ;   in Loop: Header=BB156_3 Depth=1
	s_waitcnt lgkmcnt(4)
	global_store_b32 v[2:3], v62, off offset:1408
	s_or_b32 exec_lo, exec_lo, s1
	s_delay_alu instid0(SALU_CYCLE_1)
	s_mov_b32 s1, exec_lo
	v_cmpx_gt_u32_e64 s4, v47
	s_cbranch_execz .LBB156_26
.LBB156_47:                             ;   in Loop: Header=BB156_3 Depth=1
	s_waitcnt lgkmcnt(3)
	global_store_b32 v[2:3], v61, off offset:1536
	s_or_b32 exec_lo, exec_lo, s1
	s_delay_alu instid0(SALU_CYCLE_1)
	s_mov_b32 s1, exec_lo
	v_cmpx_gt_u32_e64 s4, v48
	s_cbranch_execz .LBB156_27
.LBB156_48:                             ;   in Loop: Header=BB156_3 Depth=1
	s_waitcnt lgkmcnt(2)
	global_store_b32 v[2:3], v60, off offset:1664
	s_or_b32 exec_lo, exec_lo, s1
	s_delay_alu instid0(SALU_CYCLE_1)
	s_mov_b32 s1, exec_lo
	v_cmpx_gt_u32_e64 s4, v49
	s_cbranch_execz .LBB156_28
.LBB156_49:                             ;   in Loop: Header=BB156_3 Depth=1
	s_waitcnt lgkmcnt(1)
	global_store_b32 v[2:3], v59, off offset:1792
	s_or_b32 exec_lo, exec_lo, s1
	s_delay_alu instid0(SALU_CYCLE_1)
	s_mov_b32 s1, exec_lo
	v_cmpx_gt_u32_e64 s4, v52
	s_cbranch_execz .LBB156_2
.LBB156_50:                             ;   in Loop: Header=BB156_3 Depth=1
	s_waitcnt lgkmcnt(0)
	global_store_b32 v[2:3], v0, off offset:1920
	s_branch .LBB156_2
.LBB156_51:
	s_nop 0
	s_sendmsg sendmsg(MSG_DEALLOC_VGPRS)
	s_endpgm
	.section	.rodata,"a",@progbits
	.p2align	6, 0x0
	.amdhsa_kernel _Z20kDequantizeBlockwiseIfLi512ELi64ELi8ELi1EEvPfPhS0_PT_ii
		.amdhsa_group_segment_fixed_size 4752
		.amdhsa_private_segment_fixed_size 0
		.amdhsa_kernarg_size 296
		.amdhsa_user_sgpr_count 15
		.amdhsa_user_sgpr_dispatch_ptr 0
		.amdhsa_user_sgpr_queue_ptr 0
		.amdhsa_user_sgpr_kernarg_segment_ptr 1
		.amdhsa_user_sgpr_dispatch_id 0
		.amdhsa_user_sgpr_private_segment_size 0
		.amdhsa_wavefront_size32 1
		.amdhsa_uses_dynamic_stack 0
		.amdhsa_enable_private_segment 0
		.amdhsa_system_sgpr_workgroup_id_x 1
		.amdhsa_system_sgpr_workgroup_id_y 0
		.amdhsa_system_sgpr_workgroup_id_z 0
		.amdhsa_system_sgpr_workgroup_info 0
		.amdhsa_system_vgpr_workitem_id 0
		.amdhsa_next_free_vgpr 89
		.amdhsa_next_free_sgpr 16
		.amdhsa_reserve_vcc 1
		.amdhsa_float_round_mode_32 0
		.amdhsa_float_round_mode_16_64 0
		.amdhsa_float_denorm_mode_32 3
		.amdhsa_float_denorm_mode_16_64 3
		.amdhsa_dx10_clamp 1
		.amdhsa_ieee_mode 1
		.amdhsa_fp16_overflow 0
		.amdhsa_workgroup_processor_mode 1
		.amdhsa_memory_ordered 1
		.amdhsa_forward_progress 0
		.amdhsa_shared_vgpr_count 0
		.amdhsa_exception_fp_ieee_invalid_op 0
		.amdhsa_exception_fp_denorm_src 0
		.amdhsa_exception_fp_ieee_div_zero 0
		.amdhsa_exception_fp_ieee_overflow 0
		.amdhsa_exception_fp_ieee_underflow 0
		.amdhsa_exception_fp_ieee_inexact 0
		.amdhsa_exception_int_div_zero 0
	.end_amdhsa_kernel
	.section	.text._Z20kDequantizeBlockwiseIfLi512ELi64ELi8ELi1EEvPfPhS0_PT_ii,"axG",@progbits,_Z20kDequantizeBlockwiseIfLi512ELi64ELi8ELi1EEvPfPhS0_PT_ii,comdat
.Lfunc_end156:
	.size	_Z20kDequantizeBlockwiseIfLi512ELi64ELi8ELi1EEvPfPhS0_PT_ii, .Lfunc_end156-_Z20kDequantizeBlockwiseIfLi512ELi64ELi8ELi1EEvPfPhS0_PT_ii
                                        ; -- End function
	.section	.AMDGPU.csdata,"",@progbits
; Kernel info:
; codeLenInByte = 3288
; NumSgprs: 18
; NumVgprs: 89
; ScratchSize: 0
; MemoryBound: 0
; FloatMode: 240
; IeeeMode: 1
; LDSByteSize: 4752 bytes/workgroup (compile time only)
; SGPRBlocks: 2
; VGPRBlocks: 11
; NumSGPRsForWavesPerEU: 18
; NumVGPRsForWavesPerEU: 89
; Occupancy: 16
; WaveLimiterHint : 0
; COMPUTE_PGM_RSRC2:SCRATCH_EN: 0
; COMPUTE_PGM_RSRC2:USER_SGPR: 15
; COMPUTE_PGM_RSRC2:TRAP_HANDLER: 0
; COMPUTE_PGM_RSRC2:TGID_X_EN: 1
; COMPUTE_PGM_RSRC2:TGID_Y_EN: 0
; COMPUTE_PGM_RSRC2:TGID_Z_EN: 0
; COMPUTE_PGM_RSRC2:TIDIG_COMP_CNT: 0
	.section	.text._Z20kDequantizeBlockwiseIfLi512ELi64ELi8ELi0EEvPfPhS0_PT_ii,"axG",@progbits,_Z20kDequantizeBlockwiseIfLi512ELi64ELi8ELi0EEvPfPhS0_PT_ii,comdat
